;; amdgpu-corpus repo=ROCm/rocFFT kind=compiled arch=gfx950 opt=O3
	.text
	.amdgcn_target "amdgcn-amd-amdhsa--gfx950"
	.amdhsa_code_object_version 6
	.protected	fft_rtc_back_len220_factors_10_2_11_wgs_110_tpt_22_dp_ip_CI_unitstride_sbrr_C2R_dirReg ; -- Begin function fft_rtc_back_len220_factors_10_2_11_wgs_110_tpt_22_dp_ip_CI_unitstride_sbrr_C2R_dirReg
	.globl	fft_rtc_back_len220_factors_10_2_11_wgs_110_tpt_22_dp_ip_CI_unitstride_sbrr_C2R_dirReg
	.p2align	8
	.type	fft_rtc_back_len220_factors_10_2_11_wgs_110_tpt_22_dp_ip_CI_unitstride_sbrr_C2R_dirReg,@function
fft_rtc_back_len220_factors_10_2_11_wgs_110_tpt_22_dp_ip_CI_unitstride_sbrr_C2R_dirReg: ; @fft_rtc_back_len220_factors_10_2_11_wgs_110_tpt_22_dp_ip_CI_unitstride_sbrr_C2R_dirReg
; %bb.0:
	s_load_dwordx2 s[8:9], s[0:1], 0x50
	s_load_dwordx4 s[4:7], s[0:1], 0x0
	s_load_dwordx2 s[10:11], s[0:1], 0x18
	v_mul_u32_u24_e32 v1, 0xba3, v0
	v_lshrrev_b32_e32 v2, 16, v1
	v_mad_u64_u32 v[2:3], s[2:3], s2, 5, v[2:3]
	v_mov_b32_e32 v6, 0
	v_mov_b32_e32 v3, v6
	s_waitcnt lgkmcnt(0)
	v_cmp_lt_u64_e64 s[2:3], s[6:7], 2
	s_and_b64 vcc, exec, s[2:3]
	v_mov_b64_e32 v[4:5], 0
	v_mov_b64_e32 v[10:11], v[2:3]
	s_cbranch_vccnz .LBB0_8
; %bb.1:
	s_load_dwordx2 s[2:3], s[0:1], 0x10
	s_add_u32 s12, s10, 8
	s_addc_u32 s13, s11, 0
	s_mov_b64 s[14:15], 1
	v_mov_b64_e32 v[4:5], 0
	s_waitcnt lgkmcnt(0)
	s_add_u32 s16, s2, 8
	s_addc_u32 s17, s3, 0
	v_mov_b64_e32 v[8:9], v[2:3]
.LBB0_2:                                ; =>This Inner Loop Header: Depth=1
	s_load_dwordx2 s[18:19], s[16:17], 0x0
                                        ; implicit-def: $vgpr10_vgpr11
	s_waitcnt lgkmcnt(0)
	v_or_b32_e32 v7, s19, v9
	v_cmp_ne_u64_e32 vcc, 0, v[6:7]
	s_and_saveexec_b64 s[2:3], vcc
	s_xor_b64 s[20:21], exec, s[2:3]
	s_cbranch_execz .LBB0_4
; %bb.3:                                ;   in Loop: Header=BB0_2 Depth=1
	v_cvt_f32_u32_e32 v1, s18
	v_cvt_f32_u32_e32 v3, s19
	s_sub_u32 s2, 0, s18
	s_subb_u32 s3, 0, s19
	v_fmac_f32_e32 v1, 0x4f800000, v3
	v_rcp_f32_e32 v1, v1
	s_nop 0
	v_mul_f32_e32 v1, 0x5f7ffffc, v1
	v_mul_f32_e32 v3, 0x2f800000, v1
	v_trunc_f32_e32 v3, v3
	v_fmac_f32_e32 v1, 0xcf800000, v3
	v_cvt_u32_f32_e32 v3, v3
	v_cvt_u32_f32_e32 v1, v1
	v_mul_lo_u32 v7, s2, v3
	v_mul_hi_u32 v10, s2, v1
	v_mul_lo_u32 v11, s3, v1
	v_add_u32_e32 v7, v10, v7
	v_mul_lo_u32 v14, s2, v1
	v_add_u32_e32 v7, v7, v11
	v_mul_hi_u32 v10, v1, v14
	v_mul_hi_u32 v13, v1, v7
	v_mul_lo_u32 v12, v1, v7
	v_mov_b32_e32 v11, v6
	v_lshl_add_u64 v[10:11], v[10:11], 0, v[12:13]
	v_mul_hi_u32 v13, v3, v14
	v_mul_lo_u32 v14, v3, v14
	v_add_co_u32_e32 v10, vcc, v10, v14
	v_mul_hi_u32 v12, v3, v7
	s_nop 0
	v_addc_co_u32_e32 v10, vcc, v11, v13, vcc
	v_mov_b32_e32 v11, v6
	s_nop 0
	v_addc_co_u32_e32 v13, vcc, 0, v12, vcc
	v_mul_lo_u32 v12, v3, v7
	v_lshl_add_u64 v[10:11], v[10:11], 0, v[12:13]
	v_add_co_u32_e32 v1, vcc, v1, v10
	v_mul_hi_u32 v10, s2, v1
	s_nop 0
	v_addc_co_u32_e32 v3, vcc, v3, v11, vcc
	v_mul_lo_u32 v7, s2, v3
	v_add_u32_e32 v7, v10, v7
	v_mul_lo_u32 v10, s3, v1
	v_add_u32_e32 v7, v7, v10
	v_mul_lo_u32 v12, s2, v1
	v_mul_hi_u32 v15, v3, v12
	v_mul_lo_u32 v16, v3, v12
	v_mul_hi_u32 v11, v1, v7
	;; [unrolled: 2-line block ×3, first 2 shown]
	v_mov_b32_e32 v13, v6
	v_lshl_add_u64 v[10:11], v[12:13], 0, v[10:11]
	v_add_co_u32_e32 v10, vcc, v10, v16
	v_mul_hi_u32 v14, v3, v7
	s_nop 0
	v_addc_co_u32_e32 v10, vcc, v11, v15, vcc
	v_mul_lo_u32 v12, v3, v7
	s_nop 0
	v_addc_co_u32_e32 v13, vcc, 0, v14, vcc
	v_mov_b32_e32 v11, v6
	v_lshl_add_u64 v[10:11], v[10:11], 0, v[12:13]
	v_add_co_u32_e32 v1, vcc, v1, v10
	v_mul_hi_u32 v12, v8, v1
	s_nop 0
	v_addc_co_u32_e32 v3, vcc, v3, v11, vcc
	v_mad_u64_u32 v[10:11], s[2:3], v8, v3, 0
	v_mov_b32_e32 v13, v6
	v_lshl_add_u64 v[10:11], v[12:13], 0, v[10:11]
	v_mad_u64_u32 v[14:15], s[2:3], v9, v1, 0
	v_add_co_u32_e32 v1, vcc, v10, v14
	v_mad_u64_u32 v[12:13], s[2:3], v9, v3, 0
	s_nop 0
	v_addc_co_u32_e32 v10, vcc, v11, v15, vcc
	v_mov_b32_e32 v11, v6
	s_nop 0
	v_addc_co_u32_e32 v13, vcc, 0, v13, vcc
	v_lshl_add_u64 v[10:11], v[10:11], 0, v[12:13]
	v_mul_lo_u32 v1, s19, v10
	v_mul_lo_u32 v3, s18, v11
	v_mad_u64_u32 v[12:13], s[2:3], s18, v10, 0
	v_add3_u32 v1, v13, v3, v1
	v_sub_u32_e32 v3, v9, v1
	v_mov_b32_e32 v7, s19
	v_sub_co_u32_e32 v16, vcc, v8, v12
	v_lshl_add_u64 v[14:15], v[10:11], 0, 1
	s_nop 0
	v_subb_co_u32_e64 v3, s[2:3], v3, v7, vcc
	v_subrev_co_u32_e64 v7, s[2:3], s18, v16
	v_subb_co_u32_e32 v1, vcc, v9, v1, vcc
	s_nop 0
	v_subbrev_co_u32_e64 v3, s[2:3], 0, v3, s[2:3]
	v_cmp_le_u32_e64 s[2:3], s19, v3
	v_cmp_le_u32_e32 vcc, s19, v1
	s_nop 0
	v_cndmask_b32_e64 v12, 0, -1, s[2:3]
	v_cmp_le_u32_e64 s[2:3], s18, v7
	s_nop 1
	v_cndmask_b32_e64 v7, 0, -1, s[2:3]
	v_cmp_eq_u32_e64 s[2:3], s19, v3
	s_nop 1
	v_cndmask_b32_e64 v3, v12, v7, s[2:3]
	v_lshl_add_u64 v[12:13], v[10:11], 0, 2
	v_cmp_ne_u32_e64 s[2:3], 0, v3
	v_cndmask_b32_e64 v7, 0, -1, vcc
	v_cmp_le_u32_e32 vcc, s18, v16
	v_cndmask_b32_e64 v3, v15, v13, s[2:3]
	s_nop 0
	v_cndmask_b32_e64 v13, 0, -1, vcc
	v_cmp_eq_u32_e32 vcc, s19, v1
	s_nop 1
	v_cndmask_b32_e32 v1, v7, v13, vcc
	v_cmp_ne_u32_e32 vcc, 0, v1
	v_cndmask_b32_e64 v1, v14, v12, s[2:3]
	s_nop 0
	v_cndmask_b32_e32 v11, v11, v3, vcc
	v_cndmask_b32_e32 v10, v10, v1, vcc
.LBB0_4:                                ;   in Loop: Header=BB0_2 Depth=1
	s_andn2_saveexec_b64 s[2:3], s[20:21]
	s_cbranch_execz .LBB0_6
; %bb.5:                                ;   in Loop: Header=BB0_2 Depth=1
	v_cvt_f32_u32_e32 v1, s18
	s_sub_i32 s20, 0, s18
	v_mov_b32_e32 v11, v6
	v_rcp_iflag_f32_e32 v1, v1
	s_nop 0
	v_mul_f32_e32 v1, 0x4f7ffffe, v1
	v_cvt_u32_f32_e32 v1, v1
	v_mul_lo_u32 v3, s20, v1
	v_mul_hi_u32 v3, v1, v3
	v_add_u32_e32 v1, v1, v3
	v_mul_hi_u32 v1, v8, v1
	v_mul_lo_u32 v3, v1, s18
	v_sub_u32_e32 v3, v8, v3
	v_add_u32_e32 v7, 1, v1
	v_subrev_u32_e32 v10, s18, v3
	v_cmp_le_u32_e32 vcc, s18, v3
	s_nop 1
	v_cndmask_b32_e32 v3, v3, v10, vcc
	v_cndmask_b32_e32 v1, v1, v7, vcc
	v_add_u32_e32 v7, 1, v1
	v_cmp_le_u32_e32 vcc, s18, v3
	s_nop 1
	v_cndmask_b32_e32 v10, v1, v7, vcc
.LBB0_6:                                ;   in Loop: Header=BB0_2 Depth=1
	s_or_b64 exec, exec, s[2:3]
	v_mad_u64_u32 v[12:13], s[2:3], v10, s18, 0
	s_load_dwordx2 s[2:3], s[12:13], 0x0
	s_add_u32 s14, s14, 1
	v_mul_lo_u32 v1, v11, s18
	v_mul_lo_u32 v3, v10, s19
	s_addc_u32 s15, s15, 0
	v_add3_u32 v1, v13, v3, v1
	v_sub_co_u32_e32 v3, vcc, v8, v12
	s_add_u32 s12, s12, 8
	s_nop 0
	v_subb_co_u32_e32 v1, vcc, v9, v1, vcc
	s_addc_u32 s13, s13, 0
	v_mov_b64_e32 v[8:9], s[6:7]
	s_waitcnt lgkmcnt(0)
	v_mul_lo_u32 v1, s2, v1
	v_mul_lo_u32 v7, s3, v3
	v_mad_u64_u32 v[4:5], s[2:3], s2, v3, v[4:5]
	s_add_u32 s16, s16, 8
	v_cmp_ge_u64_e32 vcc, s[14:15], v[8:9]
	v_add3_u32 v5, v7, v5, v1
	s_addc_u32 s17, s17, 0
	s_cbranch_vccnz .LBB0_8
; %bb.7:                                ;   in Loop: Header=BB0_2 Depth=1
	v_mov_b64_e32 v[8:9], v[10:11]
	s_branch .LBB0_2
.LBB0_8:
	s_lshl_b64 s[2:3], s[6:7], 3
	s_add_u32 s2, s10, s2
	s_addc_u32 s3, s11, s3
	s_load_dwordx2 s[6:7], s[2:3], 0x0
	s_load_dwordx2 s[10:11], s[0:1], 0x20
	s_waitcnt lgkmcnt(0)
	v_mad_u64_u32 v[4:5], s[0:1], s6, v10, v[4:5]
	v_mul_lo_u32 v1, s6, v11
	v_mul_lo_u32 v3, s7, v10
	s_mov_b32 s0, 0xcccccccd
	v_add3_u32 v5, v3, v5, v1
	v_mul_hi_u32 v1, v2, s0
	v_lshrrev_b32_e32 v1, 2, v1
	v_lshl_add_u32 v1, v1, 2, v1
	s_mov_b32 s0, 0xba2e8bb
	v_sub_u32_e32 v1, v2, v1
	v_mul_hi_u32 v2, v0, s0
	v_mul_u32_u24_e32 v1, 0xdd, v1
	v_mul_u32_u24_e32 v2, 22, v2
	v_cmp_gt_u64_e32 vcc, s[10:11], v[10:11]
	v_sub_u32_e32 v46, v0, v2
	v_lshl_add_u64 v[44:45], v[4:5], 4, s[8:9]
	v_lshlrev_b32_e32 v40, 4, v1
	s_and_saveexec_b64 s[2:3], vcc
	s_cbranch_execz .LBB0_12
; %bb.9:
	v_mov_b32_e32 v47, 0
	v_lshl_add_u64 v[38:39], v[46:47], 4, v[44:45]
	global_load_dwordx4 v[2:5], v[38:39], off
	global_load_dwordx4 v[6:9], v[38:39], off offset:352
	global_load_dwordx4 v[10:13], v[38:39], off offset:704
	;; [unrolled: 1-line block ×9, first 2 shown]
	v_lshlrev_b32_e32 v0, 4, v46
	v_add3_u32 v0, 0, v40, v0
	v_cmp_eq_u32_e64 s[0:1], 21, v46
	s_waitcnt vmcnt(9)
	ds_write_b128 v0, v[2:5]
	s_waitcnt vmcnt(8)
	ds_write_b128 v0, v[6:9] offset:352
	s_waitcnt vmcnt(7)
	ds_write_b128 v0, v[10:13] offset:704
	;; [unrolled: 2-line block ×9, first 2 shown]
	s_and_saveexec_b64 s[6:7], s[0:1]
	s_cbranch_execz .LBB0_11
; %bb.10:
	global_load_dwordx4 v[2:5], v[44:45], off offset:3520
	v_mov_b32_e32 v46, 21
	s_waitcnt vmcnt(0)
	ds_write_b128 v0, v[2:5] offset:3184
.LBB0_11:
	s_or_b64 exec, exec, s[6:7]
.LBB0_12:
	s_or_b64 exec, exec, s[2:3]
	v_lshl_add_u32 v108, v1, 4, 0
	v_lshlrev_b32_e32 v17, 4, v46
	v_add_u32_e32 v109, v108, v17
	s_waitcnt lgkmcnt(0)
	s_barrier
	v_sub_u32_e32 v16, v108, v17
	ds_read_b64 v[2:3], v109
	ds_read_b64 v[4:5], v16 offset:3520
	v_cmp_ne_u32_e64 s[0:1], 0, v46
                                        ; implicit-def: $vgpr0_vgpr1
	s_waitcnt lgkmcnt(0)
	v_add_f64 v[12:13], v[2:3], v[4:5]
	v_add_f64 v[14:15], v[2:3], -v[4:5]
	s_and_saveexec_b64 s[2:3], s[0:1]
	s_xor_b64 s[0:1], exec, s[2:3]
	s_cbranch_execz .LBB0_14
; %bb.13:
	v_mov_b32_e32 v47, 0
	v_lshl_add_u64 v[0:1], v[46:47], 4, s[4:5]
	global_load_dwordx4 v[6:9], v[0:1], off offset:3360
	ds_read_b64 v[0:1], v16 offset:3528
	ds_read_b64 v[10:11], v109 offset:8
	v_add_f64 v[12:13], v[2:3], v[4:5]
	v_add_f64 v[4:5], v[2:3], -v[4:5]
	s_waitcnt lgkmcnt(0)
	v_add_f64 v[18:19], v[0:1], v[10:11]
	v_add_f64 v[2:3], v[10:11], -v[0:1]
	s_waitcnt vmcnt(0)
	v_fma_f64 v[14:15], v[18:19], v[8:9], v[2:3]
	v_fma_f64 v[0:1], -v[4:5], v[8:9], v[12:13]
	v_fma_f64 v[2:3], v[18:19], v[8:9], -v[2:3]
	v_fma_f64 v[10:11], v[4:5], v[8:9], v[12:13]
	v_fmac_f64_e32 v[0:1], v[18:19], v[6:7]
	v_fmac_f64_e32 v[2:3], v[4:5], v[6:7]
	v_fma_f64 v[12:13], -v[18:19], v[6:7], v[10:11]
	v_fmac_f64_e32 v[14:15], v[4:5], v[6:7]
	ds_write_b128 v16, v[0:3] offset:3520
	v_mov_b64_e32 v[0:1], v[46:47]
.LBB0_14:
	s_andn2_saveexec_b64 s[0:1], s[0:1]
	s_cbranch_execz .LBB0_16
; %bb.15:
	ds_read_b128 v[0:3], v108 offset:1760
	s_waitcnt lgkmcnt(0)
	v_add_f64 v[0:1], v[0:1], v[0:1]
	v_mul_f64 v[2:3], v[2:3], -2.0
	ds_write_b128 v108, v[0:3] offset:1760
	v_mov_b64_e32 v[0:1], 0
.LBB0_16:
	s_or_b64 exec, exec, s[0:1]
	s_add_u32 s0, s4, 0xd20
	s_addc_u32 s1, s5, 0
	v_lshl_add_u64 v[22:23], v[0:1], 4, s[0:1]
	global_load_dwordx4 v[18:21], v[22:23], off offset:352
	global_load_dwordx4 v[8:11], v[22:23], off offset:704
	;; [unrolled: 1-line block ×4, first 2 shown]
	ds_write_b128 v109, v[12:15]
	ds_read_b128 v[12:15], v109 offset:352
	ds_read_b128 v[22:25], v16 offset:3168
	v_add3_u32 v47, 0, v17, v40
	s_mov_b32 s8, 0x134454ff
	s_mov_b32 s9, 0xbfee6f0e
	;; [unrolled: 1-line block ×3, first 2 shown]
	s_waitcnt lgkmcnt(0)
	v_add_f64 v[26:27], v[12:13], v[22:23]
	v_add_f64 v[28:29], v[24:25], v[14:15]
	v_add_f64 v[30:31], v[12:13], -v[22:23]
	v_add_f64 v[12:13], v[14:15], -v[24:25]
	s_mov_b32 s7, 0x3fee6f0e
	s_mov_b32 s6, s8
	;; [unrolled: 1-line block ×9, first 2 shown]
	s_waitcnt vmcnt(3)
	v_fma_f64 v[32:33], v[30:31], v[20:21], v[26:27]
	v_fma_f64 v[14:15], v[28:29], v[20:21], v[12:13]
	v_fma_f64 v[22:23], -v[30:31], v[20:21], v[26:27]
	v_fma_f64 v[24:25], v[28:29], v[20:21], -v[12:13]
	v_fma_f64 v[12:13], -v[28:29], v[18:19], v[32:33]
	v_fmac_f64_e32 v[14:15], v[30:31], v[18:19]
	v_fmac_f64_e32 v[22:23], v[28:29], v[18:19]
	v_fmac_f64_e32 v[24:25], v[30:31], v[18:19]
	ds_write_b128 v109, v[12:15] offset:352
	ds_write_b128 v16, v[22:25] offset:3168
	ds_read_b128 v[12:15], v109 offset:704
	ds_read_b128 v[18:21], v16 offset:2816
	s_waitcnt lgkmcnt(0)
	v_add_f64 v[22:23], v[12:13], v[18:19]
	v_add_f64 v[24:25], v[20:21], v[14:15]
	v_add_f64 v[26:27], v[12:13], -v[18:19]
	v_add_f64 v[14:15], v[14:15], -v[20:21]
	s_waitcnt vmcnt(2)
	v_fma_f64 v[28:29], v[26:27], v[10:11], v[22:23]
	v_fma_f64 v[12:13], v[24:25], v[10:11], v[14:15]
	v_fma_f64 v[18:19], -v[26:27], v[10:11], v[22:23]
	v_fma_f64 v[20:21], v[24:25], v[10:11], -v[14:15]
	v_fma_f64 v[10:11], -v[24:25], v[8:9], v[28:29]
	v_fmac_f64_e32 v[12:13], v[26:27], v[8:9]
	v_fmac_f64_e32 v[18:19], v[24:25], v[8:9]
	v_fmac_f64_e32 v[20:21], v[26:27], v[8:9]
	ds_write_b128 v109, v[10:13] offset:704
	ds_write_b128 v16, v[18:21] offset:2816
	ds_read_b128 v[8:11], v109 offset:1056
	ds_read_b128 v[12:15], v16 offset:2464
	s_waitcnt lgkmcnt(0)
	v_add_f64 v[18:19], v[8:9], v[12:13]
	v_add_f64 v[20:21], v[14:15], v[10:11]
	v_add_f64 v[22:23], v[8:9], -v[12:13]
	v_add_f64 v[12:13], v[10:11], -v[14:15]
	;; [unrolled: 18-line block ×3, first 2 shown]
	s_waitcnt vmcnt(0)
	v_fma_f64 v[10:11], v[18:19], v[2:3], v[12:13]
	v_fma_f64 v[4:5], v[14:15], v[2:3], v[8:9]
	v_fma_f64 v[8:9], v[14:15], v[2:3], -v[8:9]
	v_fma_f64 v[6:7], -v[18:19], v[2:3], v[12:13]
	v_fma_f64 v[2:3], -v[14:15], v[0:1], v[10:11]
	v_fmac_f64_e32 v[4:5], v[18:19], v[0:1]
	v_fmac_f64_e32 v[8:9], v[18:19], v[0:1]
	;; [unrolled: 1-line block ×3, first 2 shown]
	ds_write_b128 v109, v[2:5] offset:1408
	ds_write_b128 v16, v[6:9] offset:2112
	s_waitcnt lgkmcnt(0)
	s_barrier
	s_barrier
	ds_read_b128 v[0:3], v109
	ds_read_b128 v[8:11], v47 offset:352
	ds_read_b128 v[12:15], v47 offset:704
	;; [unrolled: 1-line block ×9, first 2 shown]
	s_waitcnt lgkmcnt(7)
	v_add_f64 v[42:43], v[0:1], v[12:13]
	s_waitcnt lgkmcnt(3)
	v_add_f64 v[4:5], v[20:21], v[28:29]
	;; [unrolled: 2-line block ×3, first 2 shown]
	v_add_f64 v[54:55], v[22:23], -v[30:31]
	v_add_f64 v[6:7], v[12:13], -v[20:21]
	;; [unrolled: 1-line block ×3, first 2 shown]
	v_fma_f64 v[4:5], -0.5, v[4:5], v[0:1]
	v_fmac_f64_e32 v[0:1], -0.5, v[58:59]
	v_add_f64 v[52:53], v[14:15], -v[34:35]
	v_add_f64 v[60:61], v[20:21], -v[12:13]
	;; [unrolled: 1-line block ×3, first 2 shown]
	v_add_f64 v[56:57], v[6:7], v[56:57]
	v_fma_f64 v[6:7], s[6:7], v[54:55], v[0:1]
	v_fmac_f64_e32 v[0:1], s[8:9], v[54:55]
	v_add_f64 v[58:59], v[60:61], v[62:63]
	v_fmac_f64_e32 v[6:7], s[0:1], v[52:53]
	v_fmac_f64_e32 v[0:1], s[2:3], v[52:53]
	v_fma_f64 v[60:61], s[8:9], v[52:53], v[4:5]
	v_fmac_f64_e32 v[4:5], s[6:7], v[52:53]
	v_fmac_f64_e32 v[6:7], s[10:11], v[58:59]
	;; [unrolled: 1-line block ×3, first 2 shown]
	v_add_f64 v[58:59], v[20:21], -v[28:29]
	v_add_f64 v[20:21], v[42:43], v[20:21]
	v_add_f64 v[42:43], v[2:3], v[14:15]
	v_fmac_f64_e32 v[60:61], s[0:1], v[54:55]
	v_fmac_f64_e32 v[4:5], s[2:3], v[54:55]
	v_add_f64 v[52:53], v[22:23], v[30:31]
	v_add_f64 v[54:55], v[14:15], -v[22:23]
	v_add_f64 v[42:43], v[42:43], v[22:23]
	v_add_f64 v[22:23], v[22:23], -v[14:15]
	v_add_f64 v[14:15], v[14:15], v[34:35]
	v_fma_f64 v[52:53], -0.5, v[52:53], v[2:3]
	v_fmac_f64_e32 v[2:3], -0.5, v[14:15]
	v_add_f64 v[12:13], v[12:13], -v[32:33]
	v_add_f64 v[20:21], v[20:21], v[28:29]
	v_add_f64 v[28:29], v[42:43], v[30:31]
	v_fma_f64 v[42:43], s[8:9], v[58:59], v[2:3]
	v_add_f64 v[14:15], v[30:31], -v[34:35]
	v_fmac_f64_e32 v[2:3], s[6:7], v[58:59]
	v_fmac_f64_e32 v[60:61], s[10:11], v[56:57]
	;; [unrolled: 1-line block ×3, first 2 shown]
	v_add_f64 v[56:57], v[34:35], -v[30:31]
	v_fmac_f64_e32 v[42:43], s[2:3], v[12:13]
	v_add_f64 v[14:15], v[22:23], v[14:15]
	v_fmac_f64_e32 v[2:3], s[0:1], v[12:13]
	v_add_f64 v[54:55], v[54:55], v[56:57]
	v_fma_f64 v[56:57], s[6:7], v[12:13], v[52:53]
	v_fmac_f64_e32 v[52:53], s[8:9], v[12:13]
	v_fmac_f64_e32 v[42:43], s[10:11], v[14:15]
	;; [unrolled: 1-line block ×3, first 2 shown]
	s_waitcnt lgkmcnt(1)
	v_add_f64 v[14:15], v[24:25], v[36:37]
	v_fmac_f64_e32 v[56:57], s[2:3], v[58:59]
	v_fmac_f64_e32 v[52:53], s[0:1], v[58:59]
	v_add_f64 v[28:29], v[28:29], v[34:35]
	v_fma_f64 v[34:35], -0.5, v[14:15], v[8:9]
	s_waitcnt lgkmcnt(0)
	v_add_f64 v[14:15], v[18:19], -v[50:51]
	v_fmac_f64_e32 v[56:57], s[10:11], v[54:55]
	v_fmac_f64_e32 v[52:53], s[10:11], v[54:55]
	v_add_f64 v[20:21], v[20:21], v[32:33]
	v_fma_f64 v[22:23], s[8:9], v[14:15], v[34:35]
	v_add_f64 v[30:31], v[26:27], -v[38:39]
	v_add_f64 v[32:33], v[16:17], -v[24:25]
	v_add_f64 v[54:55], v[48:49], -v[36:37]
	v_fmac_f64_e32 v[34:35], s[6:7], v[14:15]
	v_fmac_f64_e32 v[22:23], s[0:1], v[30:31]
	v_add_f64 v[32:33], v[32:33], v[54:55]
	v_fmac_f64_e32 v[34:35], s[2:3], v[30:31]
	v_fmac_f64_e32 v[22:23], s[10:11], v[32:33]
	;; [unrolled: 1-line block ×3, first 2 shown]
	v_add_f64 v[32:33], v[16:17], v[48:49]
	v_add_f64 v[12:13], v[8:9], v[16:17]
	v_fmac_f64_e32 v[8:9], -0.5, v[32:33]
	v_add_f64 v[32:33], v[24:25], -v[16:17]
	v_add_f64 v[54:55], v[36:37], -v[48:49]
	v_add_f64 v[32:33], v[32:33], v[54:55]
	v_fma_f64 v[54:55], s[6:7], v[30:31], v[8:9]
	v_fmac_f64_e32 v[8:9], s[8:9], v[30:31]
	v_fmac_f64_e32 v[54:55], s[0:1], v[14:15]
	;; [unrolled: 1-line block ×3, first 2 shown]
	v_add_f64 v[14:15], v[26:27], v[38:39]
	v_fma_f64 v[58:59], -0.5, v[14:15], v[10:11]
	v_add_f64 v[14:15], v[18:19], -v[26:27]
	v_add_f64 v[30:31], v[50:51], -v[38:39]
	;; [unrolled: 1-line block ×3, first 2 shown]
	v_fmac_f64_e32 v[54:55], s[10:11], v[32:33]
	v_fmac_f64_e32 v[8:9], s[10:11], v[32:33]
	v_add_f64 v[14:15], v[14:15], v[30:31]
	v_fma_f64 v[30:31], s[6:7], v[16:17], v[58:59]
	v_add_f64 v[32:33], v[24:25], -v[36:37]
	v_fmac_f64_e32 v[58:59], s[8:9], v[16:17]
	v_fmac_f64_e32 v[30:31], s[2:3], v[32:33]
	;; [unrolled: 1-line block ×5, first 2 shown]
	v_add_f64 v[12:13], v[12:13], v[24:25]
	v_add_f64 v[14:15], v[10:11], v[18:19]
	;; [unrolled: 1-line block ×3, first 2 shown]
	v_add_f64 v[24:25], v[26:27], -v[18:19]
	v_add_f64 v[18:19], v[18:19], v[50:51]
	v_add_f64 v[12:13], v[12:13], v[36:37]
	;; [unrolled: 1-line block ×4, first 2 shown]
	v_fmac_f64_e32 v[10:11], -0.5, v[18:19]
	v_add_f64 v[36:37], v[12:13], v[50:51]
	v_fma_f64 v[18:19], s[8:9], v[32:33], v[10:11]
	v_add_f64 v[12:13], v[38:39], -v[50:51]
	v_fmac_f64_e32 v[10:11], s[6:7], v[32:33]
	v_fmac_f64_e32 v[18:19], s[2:3], v[16:17]
	v_add_f64 v[12:13], v[24:25], v[12:13]
	v_fmac_f64_e32 v[10:11], s[0:1], v[16:17]
	v_fmac_f64_e32 v[18:19], s[10:11], v[12:13]
	;; [unrolled: 1-line block ×3, first 2 shown]
	v_mul_f64 v[32:33], v[30:31], s[0:1]
	v_mul_f64 v[50:51], v[22:23], s[2:3]
	v_fmac_f64_e32 v[32:33], s[12:13], v[22:23]
	v_mul_f64 v[38:39], v[18:19], s[8:9]
	v_mul_f64 v[48:49], v[10:11], s[8:9]
	s_mov_b32 s9, 0xbfd3c6ef
	s_mov_b32 s8, s10
	v_fmac_f64_e32 v[50:51], s[12:13], v[30:31]
	v_mul_f64 v[64:65], v[18:19], s[10:11]
	s_mov_b32 s13, 0xbfe9e377
	v_fmac_f64_e32 v[38:39], s[10:11], v[54:55]
	v_fmac_f64_e32 v[48:49], s[8:9], v[8:9]
	v_mul_f64 v[62:63], v[10:11], s[8:9]
	v_fmac_f64_e32 v[64:65], s[6:7], v[54:55]
	v_mul_f64 v[54:55], v[58:59], s[0:1]
	v_add_f64 v[18:19], v[56:57], v[50:51]
	v_add_f64 v[30:31], v[56:57], -v[50:51]
	v_mul_f64 v[50:51], v[58:59], s[12:13]
	s_movk_i32 s0, 0x90
	v_add_f64 v[12:13], v[20:21], v[26:27]
	v_fmac_f64_e32 v[62:63], s[6:7], v[8:9]
	v_add_f64 v[14:15], v[28:29], v[36:37]
	v_add_f64 v[24:25], v[0:1], v[48:49]
	v_fmac_f64_e32 v[54:55], s[12:13], v[34:35]
	v_fmac_f64_e32 v[50:51], s[2:3], v[34:35]
	v_add_f64 v[0:1], v[0:1], -v[48:49]
	v_mad_u32_u24 v41, v46, s0, v47
	s_movk_i32 s0, 0xcd
	v_add_f64 v[16:17], v[60:61], v[32:33]
	v_add_f64 v[8:9], v[6:7], v[38:39]
	v_add_f64 v[20:21], v[20:21], -v[26:27]
	v_add_f64 v[22:23], v[28:29], -v[36:37]
	;; [unrolled: 1-line block ×3, first 2 shown]
	v_add_f64 v[32:33], v[4:5], v[54:55]
	v_add_f64 v[10:11], v[42:43], v[64:65]
	;; [unrolled: 1-line block ×4, first 2 shown]
	v_add_f64 v[36:37], v[6:7], -v[38:39]
	v_add_f64 v[4:5], v[4:5], -v[54:55]
	;; [unrolled: 1-line block ×5, first 2 shown]
	s_barrier
	ds_write_b128 v41, v[12:15]
	ds_write_b128 v41, v[16:19] offset:16
	ds_write_b128 v41, v[8:11] offset:32
	;; [unrolled: 1-line block ×9, first 2 shown]
	v_mul_lo_u16_sdwa v0, v46, s0 dst_sel:DWORD dst_unused:UNUSED_PAD src0_sel:BYTE_0 src1_sel:DWORD
	v_lshrrev_b16_e32 v41, 11, v0
	v_mul_lo_u16_e32 v0, 10, v41
	v_sub_u16_e32 v0, v46, v0
	v_mov_b32_e32 v16, 4
	v_lshlrev_b32_sdwa v62, v16, v0 dst_sel:DWORD dst_unused:UNUSED_PAD src0_sel:DWORD src1_sel:BYTE_0
	v_add_u16_e32 v0, 22, v46
	v_mul_lo_u16_sdwa v1, v0, s0 dst_sel:DWORD dst_unused:UNUSED_PAD src0_sel:BYTE_0 src1_sel:DWORD
	v_lshrrev_b16_e32 v63, 11, v1
	v_mul_lo_u16_e32 v1, 10, v63
	v_sub_u16_e32 v0, v0, v1
	v_add_u16_e32 v8, 44, v46
	s_waitcnt lgkmcnt(0)
	s_barrier
	v_lshlrev_b32_sdwa v64, v16, v0 dst_sel:DWORD dst_unused:UNUSED_PAD src0_sel:DWORD src1_sel:BYTE_0
	global_load_dwordx4 v[0:3], v62, s[4:5]
	global_load_dwordx4 v[4:7], v64, s[4:5]
	v_mul_lo_u16_sdwa v9, v8, s0 dst_sel:DWORD dst_unused:UNUSED_PAD src0_sel:BYTE_0 src1_sel:DWORD
	v_lshrrev_b16_e32 v65, 11, v9
	v_mul_lo_u16_e32 v9, 10, v65
	v_sub_u16_e32 v8, v8, v9
	v_add_u16_e32 v12, 0x42, v46
	v_lshlrev_b32_sdwa v66, v16, v8 dst_sel:DWORD dst_unused:UNUSED_PAD src0_sel:DWORD src1_sel:BYTE_0
	v_mul_lo_u16_sdwa v8, v12, s0 dst_sel:DWORD dst_unused:UNUSED_PAD src0_sel:BYTE_0 src1_sel:DWORD
	v_lshrrev_b16_e32 v67, 11, v8
	global_load_dwordx4 v[8:11], v66, s[4:5]
	v_add_u16_e32 v17, 0x58, v46
	v_mul_lo_u16_sdwa v18, v17, s0 dst_sel:DWORD dst_unused:UNUSED_PAD src0_sel:BYTE_0 src1_sel:DWORD
	v_lshrrev_b16_e32 v69, 11, v18
	v_mul_lo_u16_e32 v13, 10, v67
	v_mul_lo_u16_e32 v18, 10, v69
	v_sub_u16_e32 v12, v12, v13
	v_sub_u16_e32 v17, v17, v18
	v_lshlrev_b32_sdwa v68, v16, v12 dst_sel:DWORD dst_unused:UNUSED_PAD src0_sel:DWORD src1_sel:BYTE_0
	global_load_dwordx4 v[12:15], v68, s[4:5]
	v_lshlrev_b32_sdwa v70, v16, v17 dst_sel:DWORD dst_unused:UNUSED_PAD src0_sel:DWORD src1_sel:BYTE_0
	global_load_dwordx4 v[16:19], v70, s[4:5]
	ds_read_b128 v[20:23], v47 offset:1760
	ds_read_b128 v[24:27], v109
	ds_read_b128 v[28:31], v47 offset:352
	ds_read_b128 v[32:35], v47 offset:1408
	;; [unrolled: 1-line block ×3, first 2 shown]
	s_movk_i32 s0, 0x140
	v_mad_u32_u24 v41, v41, s0, 0
	v_add3_u32 v41, v41, v62, v40
	s_waitcnt vmcnt(4) lgkmcnt(4)
	v_mul_f64 v[42:43], v[22:23], v[2:3]
	v_mul_f64 v[2:3], v[20:21], v[2:3]
	v_fmac_f64_e32 v[42:43], v[20:21], v[0:1]
	v_fma_f64 v[20:21], v[22:23], v[0:1], -v[2:3]
	ds_read_b128 v[0:3], v47 offset:2464
	s_waitcnt vmcnt(3) lgkmcnt(1)
	v_mul_f64 v[22:23], v[38:39], v[6:7]
	v_mul_f64 v[6:7], v[36:37], v[6:7]
	v_fmac_f64_e32 v[22:23], v[36:37], v[4:5]
	v_fma_f64 v[48:49], v[38:39], v[4:5], -v[6:7]
	ds_read_b128 v[4:7], v47 offset:2816
	s_waitcnt vmcnt(2) lgkmcnt(1)
	v_mul_f64 v[50:51], v[2:3], v[10:11]
	v_fmac_f64_e32 v[50:51], v[0:1], v[8:9]
	v_mul_f64 v[0:1], v[0:1], v[10:11]
	v_fma_f64 v[52:53], v[2:3], v[8:9], -v[0:1]
	ds_read_b128 v[0:3], v47 offset:3168
	s_waitcnt vmcnt(1) lgkmcnt(1)
	v_mul_f64 v[54:55], v[6:7], v[14:15]
	v_fmac_f64_e32 v[54:55], v[4:5], v[12:13]
	s_waitcnt vmcnt(0) lgkmcnt(0)
	v_mul_f64 v[58:59], v[2:3], v[18:19]
	v_mul_f64 v[4:5], v[4:5], v[14:15]
	v_fmac_f64_e32 v[58:59], v[0:1], v[16:17]
	v_mul_f64 v[0:1], v[0:1], v[18:19]
	v_fma_f64 v[56:57], v[6:7], v[12:13], -v[4:5]
	v_fma_f64 v[60:61], v[2:3], v[16:17], -v[0:1]
	ds_read_b128 v[16:19], v47 offset:704
	ds_read_b128 v[36:39], v47 offset:1056
	v_add_f64 v[4:5], v[24:25], -v[42:43]
	v_add_f64 v[6:7], v[26:27], -v[20:21]
	v_fma_f64 v[0:1], v[24:25], 2.0, -v[4:5]
	v_fma_f64 v[2:3], v[26:27], 2.0, -v[6:7]
	v_add_f64 v[12:13], v[28:29], -v[22:23]
	v_add_f64 v[14:15], v[30:31], -v[48:49]
	s_waitcnt lgkmcnt(0)
	s_barrier
	ds_write_b128 v41, v[0:3]
	ds_write_b128 v41, v[4:7] offset:160
	v_mad_u32_u24 v41, v63, s0, 0
	v_fma_f64 v[8:9], v[28:29], 2.0, -v[12:13]
	v_fma_f64 v[10:11], v[30:31], 2.0, -v[14:15]
	v_add3_u32 v41, v41, v64, v40
	v_add_f64 v[20:21], v[16:17], -v[50:51]
	v_add_f64 v[22:23], v[18:19], -v[52:53]
	ds_write_b128 v41, v[8:11]
	ds_write_b128 v41, v[12:15] offset:160
	v_mad_u32_u24 v41, v65, s0, 0
	v_fma_f64 v[16:17], v[16:17], 2.0, -v[20:21]
	v_fma_f64 v[18:19], v[18:19], 2.0, -v[22:23]
	v_add3_u32 v41, v41, v66, v40
	v_add_f64 v[28:29], v[36:37], -v[54:55]
	v_add_f64 v[30:31], v[38:39], -v[56:57]
	ds_write_b128 v41, v[16:19]
	ds_write_b128 v41, v[20:23] offset:160
	v_mad_u32_u24 v41, v67, s0, 0
	v_fma_f64 v[24:25], v[36:37], 2.0, -v[28:29]
	v_fma_f64 v[26:27], v[38:39], 2.0, -v[30:31]
	v_add3_u32 v41, v41, v68, v40
	v_add_f64 v[36:37], v[32:33], -v[58:59]
	v_add_f64 v[38:39], v[34:35], -v[60:61]
	ds_write_b128 v41, v[24:27]
	ds_write_b128 v41, v[28:31] offset:160
	v_mad_u32_u24 v41, v69, s0, 0
	v_fma_f64 v[32:33], v[32:33], 2.0, -v[36:37]
	v_fma_f64 v[34:35], v[34:35], 2.0, -v[38:39]
	v_add3_u32 v40, v41, v70, v40
	v_cmp_gt_u32_e64 s[0:1], 20, v46
	ds_write_b128 v40, v[32:35]
	ds_write_b128 v40, v[36:39] offset:160
	s_waitcnt lgkmcnt(0)
	s_barrier
	s_waitcnt lgkmcnt(0)
                                        ; implicit-def: $vgpr42_vgpr43
	s_and_saveexec_b64 s[2:3], s[0:1]
	s_cbranch_execz .LBB0_18
; %bb.17:
	ds_read_b128 v[0:3], v109
	ds_read_b128 v[4:7], v47 offset:320
	ds_read_b128 v[8:11], v47 offset:640
	;; [unrolled: 1-line block ×10, first 2 shown]
.LBB0_18:
	s_or_b64 exec, exec, s[2:3]
	s_waitcnt lgkmcnt(0)
	s_barrier
	s_and_saveexec_b64 s[2:3], s[0:1]
	s_cbranch_execz .LBB0_20
; %bb.19:
	v_subrev_u32_e32 v48, 20, v46
	v_cndmask_b32_e64 v48, v48, v46, s[0:1]
	v_mul_i32_i24_e32 v48, 10, v48
	v_mov_b32_e32 v49, 0
	v_lshl_add_u64 v[48:49], v[48:49], 4, s[4:5]
	global_load_dwordx4 v[68:71], v[48:49], off offset:224
	global_load_dwordx4 v[72:75], v[48:49], off offset:240
	global_load_dwordx4 v[76:79], v[48:49], off offset:208
	global_load_dwordx4 v[80:83], v[48:49], off offset:256
	global_load_dwordx4 v[84:87], v[48:49], off offset:192
	global_load_dwordx4 v[88:91], v[48:49], off offset:272
	global_load_dwordx4 v[92:95], v[48:49], off offset:176
	global_load_dwordx4 v[96:99], v[48:49], off offset:288
	global_load_dwordx4 v[100:103], v[48:49], off offset:160
	global_load_dwordx4 v[104:107], v[48:49], off offset:304
	s_mov_b32 s6, 0xfd768dbf
	s_mov_b32 s16, 0xf8bb580b
	;; [unrolled: 1-line block ×26, first 2 shown]
	s_waitcnt vmcnt(9)
	v_mul_f64 v[48:49], v[22:23], v[70:71]
	s_waitcnt vmcnt(8)
	v_mul_f64 v[50:51], v[26:27], v[74:75]
	v_mul_f64 v[74:75], v[24:25], v[74:75]
	s_waitcnt vmcnt(6)
	v_mul_f64 v[52:53], v[30:31], v[82:83]
	;; [unrolled: 3-line block ×4, first 2 shown]
	s_waitcnt vmcnt(1)
	v_mul_f64 v[66:67], v[6:7], v[102:103]
	s_waitcnt vmcnt(0)
	v_mul_f64 v[64:65], v[42:43], v[106:107]
	v_mul_f64 v[60:61], v[38:39], v[98:99]
	;; [unrolled: 1-line block ×4, first 2 shown]
	v_fmac_f64_e32 v[66:67], v[4:5], v[100:101]
	v_fmac_f64_e32 v[64:65], v[40:41], v[104:105]
	v_mul_f64 v[58:59], v[14:15], v[86:87]
	v_mul_f64 v[94:95], v[8:9], v[94:95]
	;; [unrolled: 1-line block ×3, first 2 shown]
	v_fmac_f64_e32 v[50:51], v[24:25], v[72:73]
	v_fma_f64 v[24:25], v[26:27], v[72:73], -v[74:75]
	v_fmac_f64_e32 v[52:53], v[28:29], v[80:81]
	v_fma_f64 v[26:27], v[30:31], v[80:81], -v[82:83]
	v_fma_f64 v[28:29], v[34:35], v[88:89], -v[90:91]
	v_fmac_f64_e32 v[62:63], v[8:9], v[92:93]
	v_fmac_f64_e32 v[60:61], v[36:37], v[96:97]
	v_fma_f64 v[36:37], v[6:7], v[100:101], -v[102:103]
	v_fma_f64 v[30:31], v[42:43], v[104:105], -v[106:107]
	v_add_f64 v[90:91], v[66:67], -v[64:65]
	v_mul_f64 v[54:55], v[18:19], v[78:79]
	v_mul_f64 v[86:87], v[12:13], v[86:87]
	v_fmac_f64_e32 v[58:59], v[12:13], v[84:85]
	v_fmac_f64_e32 v[56:57], v[32:33], v[88:89]
	v_fma_f64 v[34:35], v[10:11], v[92:93], -v[94:95]
	v_fma_f64 v[32:33], v[38:39], v[96:97], -v[98:99]
	v_add_f64 v[88:89], v[62:63], -v[60:61]
	v_add_f64 v[40:41], v[36:37], v[30:31]
	v_mul_f64 v[8:9], v[90:91], s[6:7]
	v_mul_f64 v[70:71], v[20:21], v[70:71]
	;; [unrolled: 1-line block ×3, first 2 shown]
	v_fmac_f64_e32 v[54:55], v[16:17], v[76:77]
	v_fma_f64 v[72:73], v[14:15], v[84:85], -v[86:87]
	v_add_f64 v[38:39], v[34:35], v[32:33]
	v_add_f64 v[84:85], v[58:59], -v[56:57]
	v_mul_f64 v[10:11], v[88:89], s[16:17]
	v_fma_f64 v[4:5], s[4:5], v[40:41], v[8:9]
	v_fmac_f64_e32 v[48:49], v[20:21], v[68:69]
	v_fma_f64 v[68:69], v[22:23], v[68:69], -v[70:71]
	v_fma_f64 v[70:71], v[18:19], v[76:77], -v[78:79]
	v_add_f64 v[42:43], v[72:73], v[28:29]
	v_add_f64 v[82:83], v[54:55], -v[52:53]
	v_mul_f64 v[12:13], v[84:85], s[12:13]
	v_fma_f64 v[6:7], s[0:1], v[38:39], v[10:11]
	v_add_f64 v[4:5], v[2:3], v[4:5]
	v_add_f64 v[74:75], v[70:71], v[26:27]
	v_add_f64 v[92:93], v[36:37], -v[30:31]
	v_mul_f64 v[14:15], v[82:83], s[14:15]
	v_fma_f64 v[16:17], s[8:9], v[42:43], v[12:13]
	v_add_f64 v[4:5], v[6:7], v[4:5]
	v_add_f64 v[76:77], v[66:67], v[64:65]
	v_fma_f64 v[18:19], s[10:11], v[74:75], v[14:15]
	v_add_f64 v[4:5], v[16:17], v[4:5]
	v_mul_f64 v[16:17], v[92:93], s[6:7]
	v_add_f64 v[102:103], v[34:35], -v[32:33]
	v_add_f64 v[4:5], v[18:19], v[4:5]
	v_fma_f64 v[6:7], v[76:77], s[4:5], -v[16:17]
	v_add_f64 v[78:79], v[62:63], v[60:61]
	v_mul_f64 v[18:19], v[102:103], s[16:17]
	v_fma_f64 v[8:9], v[40:41], s[4:5], -v[8:9]
	v_add_f64 v[6:7], v[0:1], v[6:7]
	v_fma_f64 v[20:21], v[78:79], s[0:1], -v[18:19]
	v_add_f64 v[98:99], v[72:73], -v[28:29]
	v_fma_f64 v[10:11], v[38:39], s[0:1], -v[10:11]
	v_add_f64 v[8:9], v[2:3], v[8:9]
	v_add_f64 v[6:7], v[20:21], v[6:7]
	;; [unrolled: 1-line block ×3, first 2 shown]
	v_mul_f64 v[20:21], v[98:99], s[12:13]
	v_add_f64 v[8:9], v[10:11], v[8:9]
	v_fma_f64 v[10:11], v[42:43], s[8:9], -v[12:13]
	v_fma_f64 v[22:23], v[80:81], s[8:9], -v[20:21]
	v_add_f64 v[100:101], v[70:71], -v[26:27]
	v_add_f64 v[8:9], v[10:11], v[8:9]
	v_fma_f64 v[10:11], v[74:75], s[10:11], -v[14:15]
	v_fmac_f64_e32 v[16:17], s[4:5], v[76:77]
	v_add_f64 v[6:7], v[22:23], v[6:7]
	v_add_f64 v[86:87], v[54:55], v[52:53]
	v_mul_f64 v[22:23], v[100:101], s[14:15]
	v_add_f64 v[104:105], v[48:49], -v[50:51]
	v_add_f64 v[8:9], v[10:11], v[8:9]
	v_fmac_f64_e32 v[18:19], s[0:1], v[78:79]
	v_add_f64 v[10:11], v[0:1], v[16:17]
	v_fma_f64 v[94:95], v[86:87], s[10:11], -v[22:23]
	v_mul_f64 v[112:113], v[104:105], s[20:21]
	v_add_f64 v[96:97], v[68:69], v[24:25]
	v_add_f64 v[106:107], v[68:69], -v[24:25]
	v_add_f64 v[10:11], v[18:19], v[10:11]
	v_fmac_f64_e32 v[20:21], s[8:9], v[80:81]
	v_add_f64 v[110:111], v[94:95], v[6:7]
	v_fma_f64 v[6:7], s[18:19], v[96:97], v[112:113]
	v_add_f64 v[94:95], v[48:49], v[50:51]
	v_mul_f64 v[114:115], v[106:107], s[20:21]
	v_add_f64 v[10:11], v[20:21], v[10:11]
	v_fmac_f64_e32 v[22:23], s[10:11], v[86:87]
	v_add_f64 v[6:7], v[6:7], v[4:5]
	v_fma_f64 v[4:5], v[94:95], s[18:19], -v[114:115]
	v_add_f64 v[12:13], v[22:23], v[10:11]
	v_fma_f64 v[10:11], v[96:97], s[18:19], -v[112:113]
	v_fmac_f64_e32 v[114:115], s[18:19], v[94:95]
	v_mul_f64 v[16:17], v[90:91], s[12:13]
	v_add_f64 v[10:11], v[10:11], v[8:9]
	v_add_f64 v[8:9], v[114:115], v[12:13]
	v_fma_f64 v[12:13], s[8:9], v[40:41], v[16:17]
	v_mul_f64 v[18:19], v[88:89], s[24:25]
	v_add_f64 v[12:13], v[2:3], v[12:13]
	v_fma_f64 v[14:15], s[18:19], v[38:39], v[18:19]
	v_mul_f64 v[20:21], v[84:85], s[22:23]
	;; [unrolled: 3-line block ×3, first 2 shown]
	v_add_f64 v[4:5], v[4:5], v[110:111]
	v_add_f64 v[12:13], v[14:15], v[12:13]
	v_fma_f64 v[14:15], s[4:5], v[74:75], v[22:23]
	v_mul_f64 v[110:111], v[92:93], s[12:13]
	v_add_f64 v[12:13], v[14:15], v[12:13]
	v_fma_f64 v[14:15], v[76:77], s[8:9], -v[110:111]
	v_mul_f64 v[112:113], v[102:103], s[24:25]
	v_fma_f64 v[16:17], v[40:41], s[8:9], -v[16:17]
	v_add_f64 v[14:15], v[0:1], v[14:15]
	v_fma_f64 v[114:115], v[78:79], s[18:19], -v[112:113]
	v_fma_f64 v[18:19], v[38:39], s[18:19], -v[18:19]
	v_add_f64 v[16:17], v[2:3], v[16:17]
	v_add_f64 v[14:15], v[114:115], v[14:15]
	v_mul_f64 v[114:115], v[98:99], s[22:23]
	v_add_f64 v[16:17], v[18:19], v[16:17]
	v_fma_f64 v[18:19], v[42:43], s[0:1], -v[20:21]
	v_fma_f64 v[116:117], v[80:81], s[0:1], -v[114:115]
	v_add_f64 v[16:17], v[18:19], v[16:17]
	v_fma_f64 v[18:19], v[74:75], s[4:5], -v[22:23]
	v_fmac_f64_e32 v[110:111], s[8:9], v[76:77]
	v_add_f64 v[14:15], v[116:117], v[14:15]
	v_mul_f64 v[116:117], v[100:101], s[6:7]
	v_add_f64 v[16:17], v[18:19], v[16:17]
	v_fmac_f64_e32 v[112:113], s[18:19], v[78:79]
	v_add_f64 v[18:19], v[0:1], v[110:111]
	v_fma_f64 v[118:119], v[86:87], s[4:5], -v[116:117]
	v_mul_f64 v[120:121], v[104:105], s[14:15]
	v_add_f64 v[18:19], v[112:113], v[18:19]
	v_fmac_f64_e32 v[114:115], s[0:1], v[80:81]
	v_add_f64 v[118:119], v[118:119], v[14:15]
	v_fma_f64 v[14:15], s[10:11], v[96:97], v[120:121]
	v_mul_f64 v[122:123], v[106:107], s[14:15]
	v_add_f64 v[18:19], v[114:115], v[18:19]
	v_fmac_f64_e32 v[116:117], s[4:5], v[86:87]
	v_add_f64 v[14:15], v[14:15], v[12:13]
	v_fma_f64 v[12:13], v[94:95], s[10:11], -v[122:123]
	v_add_f64 v[20:21], v[116:117], v[18:19]
	v_fma_f64 v[18:19], v[96:97], s[10:11], -v[120:121]
	v_fmac_f64_e32 v[122:123], s[10:11], v[94:95]
	v_mul_f64 v[110:111], v[90:91], s[20:21]
	v_add_f64 v[18:19], v[18:19], v[16:17]
	v_add_f64 v[16:17], v[122:123], v[20:21]
	v_fma_f64 v[20:21], s[18:19], v[40:41], v[110:111]
	v_mul_f64 v[112:113], v[88:89], s[26:27]
	v_add_f64 v[20:21], v[2:3], v[20:21]
	v_fma_f64 v[22:23], s[4:5], v[38:39], v[112:113]
	v_mul_f64 v[114:115], v[84:85], s[14:15]
	;; [unrolled: 3-line block ×3, first 2 shown]
	v_add_f64 v[12:13], v[12:13], v[118:119]
	v_add_f64 v[20:21], v[22:23], v[20:21]
	v_fma_f64 v[22:23], s[0:1], v[74:75], v[116:117]
	v_mul_f64 v[118:119], v[92:93], s[20:21]
	v_add_f64 v[20:21], v[22:23], v[20:21]
	v_fma_f64 v[22:23], v[76:77], s[18:19], -v[118:119]
	v_mul_f64 v[120:121], v[102:103], s[26:27]
	v_fma_f64 v[110:111], v[40:41], s[18:19], -v[110:111]
	v_add_f64 v[22:23], v[0:1], v[22:23]
	v_fma_f64 v[122:123], v[78:79], s[4:5], -v[120:121]
	v_fma_f64 v[112:113], v[38:39], s[4:5], -v[112:113]
	v_add_f64 v[110:111], v[2:3], v[110:111]
	v_add_f64 v[22:23], v[122:123], v[22:23]
	v_mul_f64 v[122:123], v[98:99], s[14:15]
	v_add_f64 v[110:111], v[112:113], v[110:111]
	v_fma_f64 v[112:113], v[42:43], s[10:11], -v[114:115]
	v_fma_f64 v[124:125], v[80:81], s[10:11], -v[122:123]
	v_add_f64 v[110:111], v[112:113], v[110:111]
	v_fma_f64 v[112:113], v[74:75], s[0:1], -v[116:117]
	v_fmac_f64_e32 v[118:119], s[18:19], v[76:77]
	v_add_f64 v[22:23], v[124:125], v[22:23]
	v_mul_f64 v[124:125], v[100:101], s[22:23]
	v_add_f64 v[110:111], v[112:113], v[110:111]
	v_fmac_f64_e32 v[120:121], s[4:5], v[78:79]
	v_add_f64 v[112:113], v[0:1], v[118:119]
	v_fma_f64 v[126:127], v[86:87], s[0:1], -v[124:125]
	v_mul_f64 v[128:129], v[104:105], s[12:13]
	v_add_f64 v[112:113], v[120:121], v[112:113]
	v_fmac_f64_e32 v[122:123], s[10:11], v[80:81]
	v_add_f64 v[126:127], v[126:127], v[22:23]
	v_fma_f64 v[22:23], s[8:9], v[96:97], v[128:129]
	v_mul_f64 v[130:131], v[106:107], s[12:13]
	v_add_f64 v[112:113], v[122:123], v[112:113]
	v_fmac_f64_e32 v[124:125], s[0:1], v[86:87]
	s_mov_b32 s15, 0xbfed1bb4
	v_add_f64 v[22:23], v[22:23], v[20:21]
	v_fma_f64 v[20:21], v[94:95], s[8:9], -v[130:131]
	v_add_f64 v[114:115], v[124:125], v[112:113]
	v_fma_f64 v[112:113], v[96:97], s[8:9], -v[128:129]
	v_fmac_f64_e32 v[130:131], s[8:9], v[94:95]
	v_mul_f64 v[118:119], v[90:91], s[14:15]
	v_add_f64 v[112:113], v[112:113], v[110:111]
	v_add_f64 v[110:111], v[130:131], v[114:115]
	v_fma_f64 v[114:115], s[10:11], v[40:41], v[118:119]
	v_mul_f64 v[120:121], v[88:89], s[12:13]
	v_add_f64 v[114:115], v[2:3], v[114:115]
	v_fma_f64 v[116:117], s[8:9], v[38:39], v[120:121]
	v_mul_f64 v[122:123], v[84:85], s[26:27]
	;; [unrolled: 3-line block ×3, first 2 shown]
	v_add_f64 v[20:21], v[20:21], v[126:127]
	v_add_f64 v[114:115], v[116:117], v[114:115]
	v_fma_f64 v[116:117], s[18:19], v[74:75], v[124:125]
	v_mul_f64 v[126:127], v[92:93], s[14:15]
	v_add_f64 v[114:115], v[116:117], v[114:115]
	v_fma_f64 v[116:117], v[76:77], s[10:11], -v[126:127]
	v_mul_f64 v[128:129], v[102:103], s[12:13]
	v_fma_f64 v[118:119], v[40:41], s[10:11], -v[118:119]
	v_add_f64 v[116:117], v[0:1], v[116:117]
	v_fma_f64 v[130:131], v[78:79], s[8:9], -v[128:129]
	v_fma_f64 v[120:121], v[38:39], s[8:9], -v[120:121]
	v_add_f64 v[118:119], v[2:3], v[118:119]
	v_add_f64 v[116:117], v[130:131], v[116:117]
	v_mul_f64 v[130:131], v[98:99], s[26:27]
	v_add_f64 v[118:119], v[120:121], v[118:119]
	v_fma_f64 v[120:121], v[42:43], s[4:5], -v[122:123]
	v_fma_f64 v[132:133], v[80:81], s[4:5], -v[130:131]
	v_add_f64 v[118:119], v[120:121], v[118:119]
	v_fma_f64 v[120:121], v[74:75], s[18:19], -v[124:125]
	v_fmac_f64_e32 v[126:127], s[10:11], v[76:77]
	v_add_f64 v[116:117], v[132:133], v[116:117]
	v_mul_f64 v[132:133], v[100:101], s[24:25]
	v_add_f64 v[118:119], v[120:121], v[118:119]
	v_fmac_f64_e32 v[128:129], s[8:9], v[78:79]
	v_add_f64 v[120:121], v[0:1], v[126:127]
	v_fma_f64 v[134:135], v[86:87], s[18:19], -v[132:133]
	v_mul_f64 v[136:137], v[104:105], s[16:17]
	v_add_f64 v[120:121], v[128:129], v[120:121]
	v_fmac_f64_e32 v[130:131], s[4:5], v[80:81]
	v_add_f64 v[134:135], v[134:135], v[116:117]
	v_fma_f64 v[116:117], s[0:1], v[96:97], v[136:137]
	v_mul_f64 v[138:139], v[106:107], s[16:17]
	v_add_f64 v[120:121], v[130:131], v[120:121]
	v_fmac_f64_e32 v[132:133], s[18:19], v[86:87]
	v_add_f64 v[116:117], v[116:117], v[114:115]
	v_fma_f64 v[114:115], v[94:95], s[0:1], -v[138:139]
	v_add_f64 v[122:123], v[132:133], v[120:121]
	v_fma_f64 v[120:121], v[96:97], s[0:1], -v[136:137]
	v_fmac_f64_e32 v[138:139], s[0:1], v[94:95]
	v_mul_f64 v[90:91], v[90:91], s[22:23]
	v_add_f64 v[120:121], v[120:121], v[118:119]
	v_add_f64 v[118:119], v[138:139], v[122:123]
	v_mul_f64 v[88:89], v[88:89], s[14:15]
	v_fma_f64 v[122:123], s[0:1], v[40:41], v[90:91]
	v_add_f64 v[122:123], v[2:3], v[122:123]
	v_fma_f64 v[124:125], s[10:11], v[38:39], v[88:89]
	v_add_f64 v[122:123], v[124:125], v[122:123]
	v_mul_f64 v[124:125], v[84:85], s[20:21]
	v_fma_f64 v[84:85], s[18:19], v[42:43], v[124:125]
	v_add_f64 v[84:85], v[84:85], v[122:123]
	v_mul_f64 v[122:123], v[82:83], s[12:13]
	v_fma_f64 v[82:83], s[8:9], v[74:75], v[122:123]
	v_mul_f64 v[92:93], v[92:93], s[22:23]
	v_fma_f64 v[40:41], v[40:41], s[0:1], -v[90:91]
	v_add_f64 v[82:83], v[82:83], v[84:85]
	v_fma_f64 v[84:85], v[76:77], s[0:1], -v[92:93]
	v_fma_f64 v[38:39], v[38:39], s[10:11], -v[88:89]
	v_add_f64 v[40:41], v[2:3], v[40:41]
	v_fmac_f64_e32 v[92:93], s[0:1], v[76:77]
	v_add_f64 v[84:85], v[0:1], v[84:85]
	v_add_f64 v[38:39], v[38:39], v[40:41]
	;; [unrolled: 1-line block ×11, first 2 shown]
	v_mul_f64 v[102:103], v[102:103], s[14:15]
	v_add_f64 v[2:3], v[2:3], v[68:69]
	v_add_f64 v[0:1], v[0:1], v[48:49]
	v_fma_f64 v[126:127], v[78:79], s[10:11], -v[102:103]
	v_mul_f64 v[98:99], v[98:99], s[20:21]
	v_add_f64 v[2:3], v[2:3], v[24:25]
	v_add_f64 v[0:1], v[0:1], v[50:51]
	;; [unrolled: 1-line block ×3, first 2 shown]
	v_fma_f64 v[126:127], v[80:81], s[18:19], -v[98:99]
	v_mul_f64 v[100:101], v[100:101], s[12:13]
	v_fmac_f64_e32 v[102:103], s[10:11], v[78:79]
	v_add_f64 v[2:3], v[2:3], v[26:27]
	v_add_f64 v[0:1], v[0:1], v[52:53]
	v_add_f64 v[84:85], v[126:127], v[84:85]
	v_fma_f64 v[126:127], v[86:87], s[8:9], -v[100:101]
	v_mul_f64 v[104:105], v[104:105], s[6:7]
	v_fma_f64 v[42:43], v[42:43], s[18:19], -v[124:125]
	v_fmac_f64_e32 v[98:99], s[18:19], v[80:81]
	v_add_f64 v[40:41], v[102:103], v[40:41]
	v_add_f64 v[2:3], v[2:3], v[28:29]
	;; [unrolled: 1-line block ×4, first 2 shown]
	v_fma_f64 v[84:85], s[4:5], v[96:97], v[104:105]
	v_mul_f64 v[106:107], v[106:107], s[6:7]
	v_fma_f64 v[74:75], v[74:75], s[8:9], -v[122:123]
	v_add_f64 v[38:39], v[42:43], v[38:39]
	v_fmac_f64_e32 v[100:101], s[8:9], v[86:87]
	v_add_f64 v[40:41], v[98:99], v[40:41]
	v_add_f64 v[2:3], v[2:3], v[32:33]
	;; [unrolled: 1-line block ×4, first 2 shown]
	v_fma_f64 v[82:83], v[94:95], s[4:5], -v[106:107]
	v_fma_f64 v[96:97], v[96:97], s[4:5], -v[104:105]
	v_add_f64 v[38:39], v[74:75], v[38:39]
	v_fmac_f64_e32 v[106:107], s[4:5], v[94:95]
	v_add_f64 v[42:43], v[100:101], v[40:41]
	v_add_f64 v[2:3], v[2:3], v[30:31]
	;; [unrolled: 1-line block ×7, first 2 shown]
	ds_write_b128 v109, v[0:3]
	ds_write_b128 v47, v[38:41] offset:320
	ds_write_b128 v47, v[118:121] offset:640
	;; [unrolled: 1-line block ×10, first 2 shown]
.LBB0_20:
	s_or_b64 exec, exec, s[2:3]
	s_waitcnt lgkmcnt(0)
	s_barrier
	s_and_saveexec_b64 s[0:1], vcc
	s_cbranch_execz .LBB0_22
; %bb.21:
	v_lshl_add_u32 v12, v46, 4, v108
	ds_read_b128 v[0:3], v12
	ds_read_b128 v[4:7], v12 offset:352
	v_mov_b32_e32 v47, 0
	v_add_u32_e32 v8, 22, v46
	v_lshl_add_u64 v[10:11], v[46:47], 4, v[44:45]
	v_mov_b32_e32 v9, v47
	s_waitcnt lgkmcnt(1)
	global_store_dwordx4 v[10:11], v[0:3], off
	s_nop 1
	v_lshl_add_u64 v[0:1], v[8:9], 4, v[44:45]
	s_waitcnt lgkmcnt(0)
	global_store_dwordx4 v[0:1], v[4:7], off
	ds_read_b128 v[0:3], v12 offset:704
	s_nop 0
	v_add_u32_e32 v4, 44, v46
	v_mov_b32_e32 v5, v47
	v_lshl_add_u64 v[8:9], v[4:5], 4, v[44:45]
	ds_read_b128 v[4:7], v12 offset:1056
	s_waitcnt lgkmcnt(1)
	global_store_dwordx4 v[8:9], v[0:3], off
	s_nop 1
	v_add_u32_e32 v0, 0x42, v46
	v_mov_b32_e32 v1, v47
	v_lshl_add_u64 v[0:1], v[0:1], 4, v[44:45]
	s_waitcnt lgkmcnt(0)
	global_store_dwordx4 v[0:1], v[4:7], off
	ds_read_b128 v[0:3], v12 offset:1408
	s_nop 0
	v_add_u32_e32 v4, 0x58, v46
	v_mov_b32_e32 v5, v47
	v_lshl_add_u64 v[8:9], v[4:5], 4, v[44:45]
	ds_read_b128 v[4:7], v12 offset:1760
	s_waitcnt lgkmcnt(1)
	global_store_dwordx4 v[8:9], v[0:3], off
	s_nop 1
	v_add_u32_e32 v0, 0x6e, v46
	v_mov_b32_e32 v1, v47
	v_lshl_add_u64 v[0:1], v[0:1], 4, v[44:45]
	s_waitcnt lgkmcnt(0)
	global_store_dwordx4 v[0:1], v[4:7], off
	ds_read_b128 v[0:3], v12 offset:2112
	s_nop 0
	v_add_u32_e32 v4, 0x84, v46
	v_mov_b32_e32 v5, v47
	v_lshl_add_u64 v[8:9], v[4:5], 4, v[44:45]
	ds_read_b128 v[4:7], v12 offset:2464
	s_waitcnt lgkmcnt(1)
	global_store_dwordx4 v[8:9], v[0:3], off
	v_add_u32_e32 v8, 0xb0, v46
	v_mov_b32_e32 v9, v47
	v_add_u32_e32 v0, 0x9a, v46
	v_mov_b32_e32 v1, v47
	v_lshl_add_u64 v[0:1], v[0:1], 4, v[44:45]
	s_waitcnt lgkmcnt(0)
	global_store_dwordx4 v[0:1], v[4:7], off
	ds_read_b128 v[0:3], v12 offset:2816
	ds_read_b128 v[4:7], v12 offset:3168
	v_lshl_add_u64 v[8:9], v[8:9], 4, v[44:45]
	v_add_u32_e32 v46, 0xc6, v46
	s_waitcnt lgkmcnt(1)
	global_store_dwordx4 v[8:9], v[0:3], off
	s_nop 1
	v_lshl_add_u64 v[0:1], v[46:47], 4, v[44:45]
	s_waitcnt lgkmcnt(0)
	global_store_dwordx4 v[0:1], v[4:7], off
.LBB0_22:
	s_endpgm
	.section	.rodata,"a",@progbits
	.p2align	6, 0x0
	.amdhsa_kernel fft_rtc_back_len220_factors_10_2_11_wgs_110_tpt_22_dp_ip_CI_unitstride_sbrr_C2R_dirReg
		.amdhsa_group_segment_fixed_size 0
		.amdhsa_private_segment_fixed_size 0
		.amdhsa_kernarg_size 88
		.amdhsa_user_sgpr_count 2
		.amdhsa_user_sgpr_dispatch_ptr 0
		.amdhsa_user_sgpr_queue_ptr 0
		.amdhsa_user_sgpr_kernarg_segment_ptr 1
		.amdhsa_user_sgpr_dispatch_id 0
		.amdhsa_user_sgpr_kernarg_preload_length 0
		.amdhsa_user_sgpr_kernarg_preload_offset 0
		.amdhsa_user_sgpr_private_segment_size 0
		.amdhsa_uses_dynamic_stack 0
		.amdhsa_enable_private_segment 0
		.amdhsa_system_sgpr_workgroup_id_x 1
		.amdhsa_system_sgpr_workgroup_id_y 0
		.amdhsa_system_sgpr_workgroup_id_z 0
		.amdhsa_system_sgpr_workgroup_info 0
		.amdhsa_system_vgpr_workitem_id 0
		.amdhsa_next_free_vgpr 140
		.amdhsa_next_free_sgpr 28
		.amdhsa_accum_offset 140
		.amdhsa_reserve_vcc 1
		.amdhsa_float_round_mode_32 0
		.amdhsa_float_round_mode_16_64 0
		.amdhsa_float_denorm_mode_32 3
		.amdhsa_float_denorm_mode_16_64 3
		.amdhsa_dx10_clamp 1
		.amdhsa_ieee_mode 1
		.amdhsa_fp16_overflow 0
		.amdhsa_tg_split 0
		.amdhsa_exception_fp_ieee_invalid_op 0
		.amdhsa_exception_fp_denorm_src 0
		.amdhsa_exception_fp_ieee_div_zero 0
		.amdhsa_exception_fp_ieee_overflow 0
		.amdhsa_exception_fp_ieee_underflow 0
		.amdhsa_exception_fp_ieee_inexact 0
		.amdhsa_exception_int_div_zero 0
	.end_amdhsa_kernel
	.text
.Lfunc_end0:
	.size	fft_rtc_back_len220_factors_10_2_11_wgs_110_tpt_22_dp_ip_CI_unitstride_sbrr_C2R_dirReg, .Lfunc_end0-fft_rtc_back_len220_factors_10_2_11_wgs_110_tpt_22_dp_ip_CI_unitstride_sbrr_C2R_dirReg
                                        ; -- End function
	.section	.AMDGPU.csdata,"",@progbits
; Kernel info:
; codeLenInByte = 7944
; NumSgprs: 34
; NumVgprs: 140
; NumAgprs: 0
; TotalNumVgprs: 140
; ScratchSize: 0
; MemoryBound: 0
; FloatMode: 240
; IeeeMode: 1
; LDSByteSize: 0 bytes/workgroup (compile time only)
; SGPRBlocks: 4
; VGPRBlocks: 17
; NumSGPRsForWavesPerEU: 34
; NumVGPRsForWavesPerEU: 140
; AccumOffset: 140
; Occupancy: 3
; WaveLimiterHint : 1
; COMPUTE_PGM_RSRC2:SCRATCH_EN: 0
; COMPUTE_PGM_RSRC2:USER_SGPR: 2
; COMPUTE_PGM_RSRC2:TRAP_HANDLER: 0
; COMPUTE_PGM_RSRC2:TGID_X_EN: 1
; COMPUTE_PGM_RSRC2:TGID_Y_EN: 0
; COMPUTE_PGM_RSRC2:TGID_Z_EN: 0
; COMPUTE_PGM_RSRC2:TIDIG_COMP_CNT: 0
; COMPUTE_PGM_RSRC3_GFX90A:ACCUM_OFFSET: 34
; COMPUTE_PGM_RSRC3_GFX90A:TG_SPLIT: 0
	.text
	.p2alignl 6, 3212836864
	.fill 256, 4, 3212836864
	.type	__hip_cuid_ef735511f16557b0,@object ; @__hip_cuid_ef735511f16557b0
	.section	.bss,"aw",@nobits
	.globl	__hip_cuid_ef735511f16557b0
__hip_cuid_ef735511f16557b0:
	.byte	0                               ; 0x0
	.size	__hip_cuid_ef735511f16557b0, 1

	.ident	"AMD clang version 19.0.0git (https://github.com/RadeonOpenCompute/llvm-project roc-6.4.0 25133 c7fe45cf4b819c5991fe208aaa96edf142730f1d)"
	.section	".note.GNU-stack","",@progbits
	.addrsig
	.addrsig_sym __hip_cuid_ef735511f16557b0
	.amdgpu_metadata
---
amdhsa.kernels:
  - .agpr_count:     0
    .args:
      - .actual_access:  read_only
        .address_space:  global
        .offset:         0
        .size:           8
        .value_kind:     global_buffer
      - .offset:         8
        .size:           8
        .value_kind:     by_value
      - .actual_access:  read_only
        .address_space:  global
        .offset:         16
        .size:           8
        .value_kind:     global_buffer
      - .actual_access:  read_only
        .address_space:  global
        .offset:         24
        .size:           8
        .value_kind:     global_buffer
      - .offset:         32
        .size:           8
        .value_kind:     by_value
      - .actual_access:  read_only
        .address_space:  global
        .offset:         40
        .size:           8
        .value_kind:     global_buffer
      - .actual_access:  read_only
        .address_space:  global
        .offset:         48
        .size:           8
        .value_kind:     global_buffer
      - .offset:         56
        .size:           4
        .value_kind:     by_value
      - .actual_access:  read_only
        .address_space:  global
        .offset:         64
        .size:           8
        .value_kind:     global_buffer
      - .actual_access:  read_only
        .address_space:  global
        .offset:         72
        .size:           8
        .value_kind:     global_buffer
      - .address_space:  global
        .offset:         80
        .size:           8
        .value_kind:     global_buffer
    .group_segment_fixed_size: 0
    .kernarg_segment_align: 8
    .kernarg_segment_size: 88
    .language:       OpenCL C
    .language_version:
      - 2
      - 0
    .max_flat_workgroup_size: 110
    .name:           fft_rtc_back_len220_factors_10_2_11_wgs_110_tpt_22_dp_ip_CI_unitstride_sbrr_C2R_dirReg
    .private_segment_fixed_size: 0
    .sgpr_count:     34
    .sgpr_spill_count: 0
    .symbol:         fft_rtc_back_len220_factors_10_2_11_wgs_110_tpt_22_dp_ip_CI_unitstride_sbrr_C2R_dirReg.kd
    .uniform_work_group_size: 1
    .uses_dynamic_stack: false
    .vgpr_count:     140
    .vgpr_spill_count: 0
    .wavefront_size: 64
amdhsa.target:   amdgcn-amd-amdhsa--gfx950
amdhsa.version:
  - 1
  - 2
...

	.end_amdgpu_metadata
